;; amdgpu-corpus repo=ROCm/rocFFT kind=compiled arch=gfx906 opt=O3
	.text
	.amdgcn_target "amdgcn-amd-amdhsa--gfx906"
	.amdhsa_code_object_version 6
	.protected	fft_rtc_back_len560_factors_8_7_5_2_wgs_56_tpt_56_dp_ip_CI_sbrr_dirReg ; -- Begin function fft_rtc_back_len560_factors_8_7_5_2_wgs_56_tpt_56_dp_ip_CI_sbrr_dirReg
	.globl	fft_rtc_back_len560_factors_8_7_5_2_wgs_56_tpt_56_dp_ip_CI_sbrr_dirReg
	.p2align	8
	.type	fft_rtc_back_len560_factors_8_7_5_2_wgs_56_tpt_56_dp_ip_CI_sbrr_dirReg,@function
fft_rtc_back_len560_factors_8_7_5_2_wgs_56_tpt_56_dp_ip_CI_sbrr_dirReg: ; @fft_rtc_back_len560_factors_8_7_5_2_wgs_56_tpt_56_dp_ip_CI_sbrr_dirReg
; %bb.0:
	s_load_dwordx2 s[14:15], s[4:5], 0x18
	s_load_dwordx4 s[8:11], s[4:5], 0x0
	s_load_dwordx2 s[12:13], s[4:5], 0x50
	v_mul_u32_u24_e32 v1, 0x493, v0
	v_add_u32_sdwa v5, s6, v1 dst_sel:DWORD dst_unused:UNUSED_PAD src0_sel:DWORD src1_sel:WORD_1
	s_waitcnt lgkmcnt(0)
	s_load_dwordx2 s[2:3], s[14:15], 0x0
	v_cmp_lt_u64_e64 s[0:1], s[10:11], 2
	v_mov_b32_e32 v3, 0
	v_mov_b32_e32 v1, 0
	;; [unrolled: 1-line block ×3, first 2 shown]
	s_and_b64 vcc, exec, s[0:1]
	v_mov_b32_e32 v2, 0
	s_cbranch_vccnz .LBB0_8
; %bb.1:
	s_load_dwordx2 s[0:1], s[4:5], 0x10
	s_add_u32 s6, s14, 8
	s_addc_u32 s7, s15, 0
	v_mov_b32_e32 v1, 0
	v_mov_b32_e32 v2, 0
	s_waitcnt lgkmcnt(0)
	s_add_u32 s16, s0, 8
	s_addc_u32 s17, s1, 0
	s_mov_b64 s[18:19], 1
.LBB0_2:                                ; =>This Inner Loop Header: Depth=1
	s_load_dwordx2 s[20:21], s[16:17], 0x0
                                        ; implicit-def: $vgpr7_vgpr8
	s_waitcnt lgkmcnt(0)
	v_or_b32_e32 v4, s21, v6
	v_cmp_ne_u64_e32 vcc, 0, v[3:4]
	s_and_saveexec_b64 s[0:1], vcc
	s_xor_b64 s[22:23], exec, s[0:1]
	s_cbranch_execz .LBB0_4
; %bb.3:                                ;   in Loop: Header=BB0_2 Depth=1
	v_cvt_f32_u32_e32 v4, s20
	v_cvt_f32_u32_e32 v7, s21
	s_sub_u32 s0, 0, s20
	s_subb_u32 s1, 0, s21
	v_mac_f32_e32 v4, 0x4f800000, v7
	v_rcp_f32_e32 v4, v4
	v_mul_f32_e32 v4, 0x5f7ffffc, v4
	v_mul_f32_e32 v7, 0x2f800000, v4
	v_trunc_f32_e32 v7, v7
	v_mac_f32_e32 v4, 0xcf800000, v7
	v_cvt_u32_f32_e32 v7, v7
	v_cvt_u32_f32_e32 v4, v4
	v_mul_lo_u32 v8, s0, v7
	v_mul_hi_u32 v9, s0, v4
	v_mul_lo_u32 v11, s1, v4
	v_mul_lo_u32 v10, s0, v4
	v_add_u32_e32 v8, v9, v8
	v_add_u32_e32 v8, v8, v11
	v_mul_hi_u32 v9, v4, v10
	v_mul_lo_u32 v11, v4, v8
	v_mul_hi_u32 v13, v4, v8
	v_mul_hi_u32 v12, v7, v10
	v_mul_lo_u32 v10, v7, v10
	v_mul_hi_u32 v14, v7, v8
	v_add_co_u32_e32 v9, vcc, v9, v11
	v_addc_co_u32_e32 v11, vcc, 0, v13, vcc
	v_mul_lo_u32 v8, v7, v8
	v_add_co_u32_e32 v9, vcc, v9, v10
	v_addc_co_u32_e32 v9, vcc, v11, v12, vcc
	v_addc_co_u32_e32 v10, vcc, 0, v14, vcc
	v_add_co_u32_e32 v8, vcc, v9, v8
	v_addc_co_u32_e32 v9, vcc, 0, v10, vcc
	v_add_co_u32_e32 v4, vcc, v4, v8
	v_addc_co_u32_e32 v7, vcc, v7, v9, vcc
	v_mul_lo_u32 v8, s0, v7
	v_mul_hi_u32 v9, s0, v4
	v_mul_lo_u32 v10, s1, v4
	v_mul_lo_u32 v11, s0, v4
	v_add_u32_e32 v8, v9, v8
	v_add_u32_e32 v8, v8, v10
	v_mul_lo_u32 v12, v4, v8
	v_mul_hi_u32 v13, v4, v11
	v_mul_hi_u32 v14, v4, v8
	;; [unrolled: 1-line block ×3, first 2 shown]
	v_mul_lo_u32 v11, v7, v11
	v_mul_hi_u32 v9, v7, v8
	v_add_co_u32_e32 v12, vcc, v13, v12
	v_addc_co_u32_e32 v13, vcc, 0, v14, vcc
	v_mul_lo_u32 v8, v7, v8
	v_add_co_u32_e32 v11, vcc, v12, v11
	v_addc_co_u32_e32 v10, vcc, v13, v10, vcc
	v_addc_co_u32_e32 v9, vcc, 0, v9, vcc
	v_add_co_u32_e32 v8, vcc, v10, v8
	v_addc_co_u32_e32 v9, vcc, 0, v9, vcc
	v_add_co_u32_e32 v4, vcc, v4, v8
	v_addc_co_u32_e32 v9, vcc, v7, v9, vcc
	v_mad_u64_u32 v[7:8], s[0:1], v5, v9, 0
	v_mul_hi_u32 v10, v5, v4
	v_add_co_u32_e32 v11, vcc, v10, v7
	v_addc_co_u32_e32 v12, vcc, 0, v8, vcc
	v_mad_u64_u32 v[7:8], s[0:1], v6, v4, 0
	v_mad_u64_u32 v[9:10], s[0:1], v6, v9, 0
	v_add_co_u32_e32 v4, vcc, v11, v7
	v_addc_co_u32_e32 v4, vcc, v12, v8, vcc
	v_addc_co_u32_e32 v7, vcc, 0, v10, vcc
	v_add_co_u32_e32 v4, vcc, v4, v9
	v_addc_co_u32_e32 v9, vcc, 0, v7, vcc
	v_mul_lo_u32 v10, s21, v4
	v_mul_lo_u32 v11, s20, v9
	v_mad_u64_u32 v[7:8], s[0:1], s20, v4, 0
	v_add3_u32 v8, v8, v11, v10
	v_sub_u32_e32 v10, v6, v8
	v_mov_b32_e32 v11, s21
	v_sub_co_u32_e32 v7, vcc, v5, v7
	v_subb_co_u32_e64 v10, s[0:1], v10, v11, vcc
	v_subrev_co_u32_e64 v11, s[0:1], s20, v7
	v_subbrev_co_u32_e64 v10, s[0:1], 0, v10, s[0:1]
	v_cmp_le_u32_e64 s[0:1], s21, v10
	v_cndmask_b32_e64 v12, 0, -1, s[0:1]
	v_cmp_le_u32_e64 s[0:1], s20, v11
	v_cndmask_b32_e64 v11, 0, -1, s[0:1]
	v_cmp_eq_u32_e64 s[0:1], s21, v10
	v_cndmask_b32_e64 v10, v12, v11, s[0:1]
	v_add_co_u32_e64 v11, s[0:1], 2, v4
	v_addc_co_u32_e64 v12, s[0:1], 0, v9, s[0:1]
	v_add_co_u32_e64 v13, s[0:1], 1, v4
	v_addc_co_u32_e64 v14, s[0:1], 0, v9, s[0:1]
	v_subb_co_u32_e32 v8, vcc, v6, v8, vcc
	v_cmp_ne_u32_e64 s[0:1], 0, v10
	v_cmp_le_u32_e32 vcc, s21, v8
	v_cndmask_b32_e64 v10, v14, v12, s[0:1]
	v_cndmask_b32_e64 v12, 0, -1, vcc
	v_cmp_le_u32_e32 vcc, s20, v7
	v_cndmask_b32_e64 v7, 0, -1, vcc
	v_cmp_eq_u32_e32 vcc, s21, v8
	v_cndmask_b32_e32 v7, v12, v7, vcc
	v_cmp_ne_u32_e32 vcc, 0, v7
	v_cndmask_b32_e64 v7, v13, v11, s[0:1]
	v_cndmask_b32_e32 v8, v9, v10, vcc
	v_cndmask_b32_e32 v7, v4, v7, vcc
.LBB0_4:                                ;   in Loop: Header=BB0_2 Depth=1
	s_andn2_saveexec_b64 s[0:1], s[22:23]
	s_cbranch_execz .LBB0_6
; %bb.5:                                ;   in Loop: Header=BB0_2 Depth=1
	v_cvt_f32_u32_e32 v4, s20
	s_sub_i32 s22, 0, s20
	v_rcp_iflag_f32_e32 v4, v4
	v_mul_f32_e32 v4, 0x4f7ffffe, v4
	v_cvt_u32_f32_e32 v4, v4
	v_mul_lo_u32 v7, s22, v4
	v_mul_hi_u32 v7, v4, v7
	v_add_u32_e32 v4, v4, v7
	v_mul_hi_u32 v4, v5, v4
	v_mul_lo_u32 v7, v4, s20
	v_add_u32_e32 v8, 1, v4
	v_sub_u32_e32 v7, v5, v7
	v_subrev_u32_e32 v9, s20, v7
	v_cmp_le_u32_e32 vcc, s20, v7
	v_cndmask_b32_e32 v7, v7, v9, vcc
	v_cndmask_b32_e32 v4, v4, v8, vcc
	v_add_u32_e32 v8, 1, v4
	v_cmp_le_u32_e32 vcc, s20, v7
	v_cndmask_b32_e32 v7, v4, v8, vcc
	v_mov_b32_e32 v8, v3
.LBB0_6:                                ;   in Loop: Header=BB0_2 Depth=1
	s_or_b64 exec, exec, s[0:1]
	v_mul_lo_u32 v4, v8, s20
	v_mul_lo_u32 v11, v7, s21
	v_mad_u64_u32 v[9:10], s[0:1], v7, s20, 0
	s_load_dwordx2 s[0:1], s[6:7], 0x0
	s_add_u32 s18, s18, 1
	v_add3_u32 v4, v10, v11, v4
	v_sub_co_u32_e32 v5, vcc, v5, v9
	v_subb_co_u32_e32 v4, vcc, v6, v4, vcc
	s_waitcnt lgkmcnt(0)
	v_mul_lo_u32 v4, s0, v4
	v_mul_lo_u32 v6, s1, v5
	v_mad_u64_u32 v[1:2], s[0:1], s0, v5, v[1:2]
	s_addc_u32 s19, s19, 0
	s_add_u32 s6, s6, 8
	v_add3_u32 v2, v6, v2, v4
	v_mov_b32_e32 v4, s10
	v_mov_b32_e32 v5, s11
	s_addc_u32 s7, s7, 0
	v_cmp_ge_u64_e32 vcc, s[18:19], v[4:5]
	s_add_u32 s16, s16, 8
	s_addc_u32 s17, s17, 0
	s_cbranch_vccnz .LBB0_9
; %bb.7:                                ;   in Loop: Header=BB0_2 Depth=1
	v_mov_b32_e32 v5, v7
	v_mov_b32_e32 v6, v8
	s_branch .LBB0_2
.LBB0_8:
	v_mov_b32_e32 v8, v6
	v_mov_b32_e32 v7, v5
.LBB0_9:
	s_lshl_b64 s[0:1], s[10:11], 3
	s_add_u32 s0, s14, s0
	s_addc_u32 s1, s15, s1
	s_load_dwordx2 s[6:7], s[0:1], 0x0
	s_load_dwordx2 s[10:11], s[4:5], 0x20
                                        ; implicit-def: $vgpr84
	s_waitcnt lgkmcnt(0)
	v_mad_u64_u32 v[1:2], s[0:1], s6, v7, v[1:2]
	s_mov_b32 s0, 0x4924925
	v_mul_lo_u32 v3, s6, v8
	v_mul_lo_u32 v4, s7, v7
	v_mul_hi_u32 v5, v0, s0
	v_cmp_gt_u64_e32 vcc, s[10:11], v[7:8]
	v_cmp_le_u64_e64 s[0:1], s[10:11], v[7:8]
	v_add3_u32 v2, v4, v2, v3
	v_mul_u32_u24_e32 v3, 56, v5
	v_sub_u32_e32 v80, v0, v3
	v_add_u32_e32 v87, 56, v80
	s_and_saveexec_b64 s[4:5], s[0:1]
	s_xor_b64 s[0:1], exec, s[4:5]
; %bb.10:
	v_add_u32_e32 v84, 56, v80
; %bb.11:
	s_or_saveexec_b64 s[4:5], s[0:1]
	v_lshlrev_b64 v[82:83], 4, v[1:2]
	v_lshl_add_u32 v86, v80, 4, 0
	s_xor_b64 exec, exec, s[4:5]
	s_cbranch_execz .LBB0_13
; %bb.12:
	v_mad_u64_u32 v[0:1], s[0:1], s2, v80, 0
	v_mov_b32_e32 v4, s13
	v_add_u32_e32 v6, 0x70, v80
	v_mad_u64_u32 v[1:2], s[0:1], s3, v80, v[1:2]
	v_mad_u64_u32 v[2:3], s[0:1], s2, v87, 0
	v_add_co_u32_e64 v43, s[0:1], s12, v82
	v_addc_co_u32_e64 v44, s[0:1], v4, v83, s[0:1]
	v_mad_u64_u32 v[3:4], s[0:1], s3, v87, v[3:4]
	v_mad_u64_u32 v[4:5], s[0:1], s2, v6, 0
	v_lshlrev_b64 v[0:1], 4, v[0:1]
	v_add_u32_e32 v7, 0xa8, v80
	v_add_co_u32_e64 v8, s[0:1], v43, v0
	v_addc_co_u32_e64 v9, s[0:1], v44, v1, s[0:1]
	v_mad_u64_u32 v[10:11], s[0:1], s2, v7, 0
	v_mov_b32_e32 v0, v5
	v_mad_u64_u32 v[0:1], s[0:1], s3, v6, v[0:1]
	v_mov_b32_e32 v1, v11
	;; [unrolled: 2-line block ×3, first 2 shown]
	v_lshlrev_b64 v[0:1], 4, v[2:3]
	v_lshlrev_b64 v[2:3], 4, v[4:5]
	v_add_co_u32_e64 v12, s[0:1], v43, v0
	v_addc_co_u32_e64 v13, s[0:1], v44, v1, s[0:1]
	v_mov_b32_e32 v11, v6
	v_add_co_u32_e64 v16, s[0:1], v43, v2
	v_addc_co_u32_e64 v17, s[0:1], v44, v3, s[0:1]
	global_load_dwordx4 v[0:3], v[8:9], off
	global_load_dwordx4 v[4:7], v[12:13], off
	v_lshlrev_b64 v[8:9], 4, v[10:11]
	v_add_u32_e32 v22, 0xe0, v80
	v_add_co_u32_e64 v18, s[0:1], v43, v8
	v_addc_co_u32_e64 v19, s[0:1], v44, v9, s[0:1]
	v_add_u32_e32 v24, 0x118, v80
	global_load_dwordx4 v[8:11], v[16:17], off
	global_load_dwordx4 v[12:15], v[18:19], off
	v_mad_u64_u32 v[16:17], s[0:1], s2, v22, 0
	v_mad_u64_u32 v[18:19], s[0:1], s2, v24, 0
	v_add_u32_e32 v25, 0x150, v80
	v_mad_u64_u32 v[20:21], s[0:1], s2, v25, 0
	v_mad_u64_u32 v[22:23], s[0:1], s3, v22, v[17:18]
	v_mov_b32_e32 v17, v19
	v_mad_u64_u32 v[23:24], s[0:1], s3, v24, v[17:18]
	v_mov_b32_e32 v17, v21
	;; [unrolled: 2-line block ×3, first 2 shown]
	v_lshlrev_b64 v[16:17], 4, v[16:17]
	v_add_u32_e32 v33, 0x188, v80
	v_add_co_u32_e64 v25, s[0:1], v43, v16
	v_addc_co_u32_e64 v26, s[0:1], v44, v17, s[0:1]
	v_mad_u64_u32 v[29:30], s[0:1], s2, v33, 0
	v_mov_b32_e32 v19, v23
	v_lshlrev_b64 v[16:17], 4, v[18:19]
	v_mov_b32_e32 v21, v24
	v_add_co_u32_e64 v31, s[0:1], v43, v16
	v_mov_b32_e32 v24, v30
	v_lshlrev_b64 v[27:28], 4, v[20:21]
	v_addc_co_u32_e64 v32, s[0:1], v44, v17, s[0:1]
	global_load_dwordx4 v[16:19], v[25:26], off
	global_load_dwordx4 v[20:23], v[31:32], off
	v_mad_u64_u32 v[24:25], s[0:1], s3, v33, v[24:25]
	v_add_co_u32_e64 v32, s[0:1], v43, v27
	v_or_b32_e32 v26, 0x1c0, v80
	v_addc_co_u32_e64 v33, s[0:1], v44, v28, s[0:1]
	v_mad_u64_u32 v[34:35], s[0:1], s2, v26, 0
	v_mov_b32_e32 v30, v24
	v_lshlrev_b64 v[24:25], 4, v[29:30]
	v_add_u32_e32 v41, 0x1f8, v80
	v_add_co_u32_e64 v36, s[0:1], v43, v24
	v_mov_b32_e32 v24, v35
	v_addc_co_u32_e64 v37, s[0:1], v44, v25, s[0:1]
	v_mad_u64_u32 v[38:39], s[0:1], s3, v26, v[24:25]
	v_mad_u64_u32 v[39:40], s[0:1], s2, v41, 0
	v_mov_b32_e32 v35, v38
	global_load_dwordx4 v[24:27], v[32:33], off
	global_load_dwordx4 v[28:31], v[36:37], off
	v_lshlrev_b64 v[32:33], 4, v[34:35]
	v_mov_b32_e32 v34, v40
	v_mad_u64_u32 v[34:35], s[0:1], s3, v41, v[34:35]
	v_add_co_u32_e64 v41, s[0:1], v43, v32
	v_mov_b32_e32 v40, v34
	v_addc_co_u32_e64 v42, s[0:1], v44, v33, s[0:1]
	v_lshlrev_b64 v[32:33], 4, v[39:40]
	v_mov_b32_e32 v84, v87
	v_add_co_u32_e64 v43, s[0:1], v43, v32
	v_addc_co_u32_e64 v44, s[0:1], v44, v33, s[0:1]
	global_load_dwordx4 v[32:35], v[41:42], off
	global_load_dwordx4 v[36:39], v[43:44], off
	s_waitcnt vmcnt(9)
	ds_write_b128 v86, v[0:3]
	s_waitcnt vmcnt(8)
	ds_write_b128 v86, v[4:7] offset:896
	s_waitcnt vmcnt(7)
	ds_write_b128 v86, v[8:11] offset:1792
	;; [unrolled: 2-line block ×9, first 2 shown]
.LBB0_13:
	s_or_b64 exec, exec, s[4:5]
	s_waitcnt lgkmcnt(0)
	; wave barrier
	s_waitcnt lgkmcnt(0)
	ds_read_b128 v[0:3], v86 offset:4480
	ds_read_b128 v[4:7], v86
	ds_read_b128 v[8:11], v86 offset:896
	ds_read_b128 v[12:15], v86 offset:5376
	;; [unrolled: 1-line block ×4, first 2 shown]
	s_waitcnt lgkmcnt(4)
	v_add_f64 v[56:57], v[4:5], -v[0:1]
	v_add_f64 v[58:59], v[6:7], -v[2:3]
	ds_read_b128 v[24:27], v86 offset:3136
	ds_read_b128 v[28:31], v86 offset:7616
	s_mov_b32 s0, 0x667f3bcd
	s_waitcnt lgkmcnt(2)
	v_add_f64 v[60:61], v[20:21], -v[16:17]
	v_add_f64 v[62:63], v[22:23], -v[18:19]
	ds_read_b128 v[0:3], v86 offset:5600
	ds_read_b128 v[16:19], v86 offset:1120
	;; [unrolled: 1-line block ×6, first 2 shown]
	s_waitcnt lgkmcnt(4)
	v_add_f64 v[0:1], v[16:17], -v[0:1]
	v_add_f64 v[2:3], v[18:19], -v[2:3]
	v_fma_f64 v[4:5], v[4:5], 2.0, -v[56:57]
	v_fma_f64 v[6:7], v[6:7], 2.0, -v[58:59]
	s_waitcnt lgkmcnt(0)
	v_add_f64 v[42:43], v[46:47], -v[42:43]
	v_add_f64 v[40:41], v[44:45], -v[40:41]
	v_add_f64 v[64:65], v[56:57], v[62:63]
	v_add_f64 v[66:67], v[58:59], -v[60:61]
	ds_read_b128 v[48:51], v86 offset:4256
	ds_read_b128 v[52:55], v86 offset:8736
	s_mov_b32 s1, 0xbfe6a09e
	s_mov_b32 s5, 0x3fe6a09e
	;; [unrolled: 1-line block ×3, first 2 shown]
	v_add_f64 v[68:69], v[0:1], v[42:43]
	v_add_f64 v[70:71], v[2:3], -v[40:41]
	v_fma_f64 v[56:57], v[56:57], 2.0, -v[64:65]
	v_fma_f64 v[58:59], v[58:59], 2.0, -v[66:67]
	;; [unrolled: 1-line block ×8, first 2 shown]
	v_fma_f64 v[76:77], v[68:69], s[4:5], v[64:65]
	v_fma_f64 v[78:79], v[70:71], s[4:5], v[66:67]
	v_fma_f64 v[44:45], v[44:45], 2.0, -v[40:41]
	v_fma_f64 v[46:47], v[46:47], 2.0, -v[42:43]
	v_add_f64 v[12:13], v[8:9], -v[12:13]
	v_add_f64 v[14:15], v[10:11], -v[14:15]
	v_fma_f64 v[60:61], v[72:73], s[0:1], v[56:57]
	v_fma_f64 v[62:63], v[74:75], s[0:1], v[58:59]
	v_add_f64 v[28:29], v[24:25], -v[28:29]
	v_add_f64 v[30:31], v[26:27], -v[30:31]
	;; [unrolled: 1-line block ×4, first 2 shown]
	s_waitcnt lgkmcnt(0)
	v_add_f64 v[54:55], v[50:51], -v[54:55]
	v_add_f64 v[52:53], v[48:49], -v[52:53]
	v_fma_f64 v[40:41], v[74:75], s[4:5], v[60:61]
	v_fma_f64 v[42:43], v[72:73], s[0:1], v[62:63]
	;; [unrolled: 1-line block ×4, first 2 shown]
	v_fma_f64 v[60:61], v[8:9], 2.0, -v[12:13]
	v_fma_f64 v[62:63], v[10:11], 2.0, -v[14:15]
	v_add_f64 v[68:69], v[12:13], v[30:31]
	v_add_f64 v[70:71], v[14:15], -v[28:29]
	v_add_f64 v[8:9], v[36:37], v[54:55]
	v_add_f64 v[10:11], v[38:39], -v[52:53]
	v_add_f64 v[22:23], v[6:7], -v[22:23]
	;; [unrolled: 1-line block ×5, first 2 shown]
	v_fma_f64 v[74:75], v[12:13], 2.0, -v[68:69]
	v_fma_f64 v[76:77], v[14:15], 2.0, -v[70:71]
	;; [unrolled: 1-line block ×12, first 2 shown]
	v_fma_f64 v[28:29], v[12:13], s[0:1], v[74:75]
	v_fma_f64 v[30:31], v[14:15], s[0:1], v[76:77]
	;; [unrolled: 1-line block ×4, first 2 shown]
	v_add_f64 v[38:39], v[78:79], -v[6:7]
	v_fma_f64 v[48:49], v[48:49], 2.0, -v[52:53]
	v_fma_f64 v[50:51], v[50:51], 2.0, -v[54:55]
	v_add_f64 v[36:37], v[46:47], -v[4:5]
	v_fma_f64 v[4:5], v[14:15], s[4:5], v[28:29]
	v_fma_f64 v[6:7], v[12:13], s[0:1], v[30:31]
	;; [unrolled: 1-line block ×4, first 2 shown]
	v_fma_f64 v[10:11], v[78:79], 2.0, -v[38:39]
	v_add_f64 v[78:79], v[60:61], -v[24:25]
	v_add_f64 v[88:89], v[62:63], -v[26:27]
	;; [unrolled: 1-line block ×4, first 2 shown]
	v_fma_f64 v[12:13], v[56:57], 2.0, -v[40:41]
	v_fma_f64 v[14:15], v[58:59], 2.0, -v[42:43]
	;; [unrolled: 1-line block ×3, first 2 shown]
	v_add_f64 v[44:45], v[20:21], v[44:45]
	v_fma_f64 v[56:57], v[60:61], 2.0, -v[78:79]
	v_fma_f64 v[58:59], v[62:63], 2.0, -v[88:89]
	;; [unrolled: 1-line block ×4, first 2 shown]
	v_add_f64 v[46:47], v[22:23], -v[72:73]
	v_add_f64 v[32:33], v[78:79], v[32:33]
	v_add_f64 v[34:35], v[88:89], -v[34:35]
	s_movk_i32 s0, 0x70
	v_mad_u32_u24 v60, v80, s0, v86
	v_add_f64 v[24:25], v[56:57], -v[16:17]
	v_add_f64 v[26:27], v[58:59], -v[18:19]
	; wave barrier
	ds_write_b128 v60, v[8:11]
	ds_write_b128 v60, v[12:15] offset:16
	v_fma_f64 v[48:49], v[20:21], 2.0, -v[44:45]
	v_fma_f64 v[50:51], v[22:23], 2.0, -v[46:47]
	;; [unrolled: 1-line block ×12, first 2 shown]
	v_cmp_gt_u32_e64 s[0:1], 14, v80
	ds_write_b128 v60, v[48:51] offset:32
	ds_write_b128 v60, v[52:55] offset:48
	;; [unrolled: 1-line block ×6, first 2 shown]
	s_and_saveexec_b64 s[4:5], s[0:1]
	s_cbranch_execz .LBB0_15
; %bb.14:
	v_lshl_add_u32 v36, v84, 7, 0
	ds_write_b128 v36, v[8:11]
	ds_write_b128 v36, v[12:15] offset:16
	ds_write_b128 v36, v[16:19] offset:32
	ds_write_b128 v36, v[20:23] offset:48
	ds_write_b128 v36, v[24:27] offset:64
	ds_write_b128 v36, v[4:7] offset:80
	ds_write_b128 v36, v[32:35] offset:96
	ds_write_b128 v36, v[28:31] offset:112
.LBB0_15:
	s_or_b64 exec, exec, s[4:5]
	s_waitcnt lgkmcnt(0)
	; wave barrier
	s_waitcnt lgkmcnt(0)
	ds_read_b128 v[28:31], v86
	ds_read_b128 v[48:51], v86 offset:1280
	ds_read_b128 v[44:47], v86 offset:2560
	;; [unrolled: 1-line block ×6, first 2 shown]
	v_cmp_gt_u32_e64 s[0:1], 24, v80
	v_lshl_add_u32 v88, v84, 4, 0
	s_and_saveexec_b64 s[4:5], s[0:1]
	s_cbranch_execz .LBB0_17
; %bb.16:
	ds_read_b128 v[0:3], v88
	ds_read_b128 v[8:11], v86 offset:2176
	ds_read_b128 v[12:15], v86 offset:3456
	;; [unrolled: 1-line block ×6, first 2 shown]
.LBB0_17:
	s_or_b64 exec, exec, s[4:5]
	v_and_b32_e32 v81, 7, v80
	v_mul_u32_u24_e32 v56, 6, v81
	v_lshlrev_b32_e32 v85, 4, v56
	global_load_dwordx4 v[60:63], v85, s[8:9]
	global_load_dwordx4 v[64:67], v85, s[8:9] offset:16
	global_load_dwordx4 v[56:59], v85, s[8:9] offset:32
	global_load_dwordx4 v[68:71], v85, s[8:9] offset:80
	global_load_dwordx4 v[76:79], v85, s[8:9] offset:64
	global_load_dwordx4 v[72:75], v85, s[8:9] offset:48
	s_mov_b32 s14, 0x37e14327
	s_mov_b32 s6, 0x36b3c0b5
	s_mov_b32 s20, 0xe976ee23
	s_mov_b32 s15, 0x3fe948f6
	s_mov_b32 s7, 0x3fac98ee
	s_mov_b32 s21, 0x3fe11646
	s_mov_b32 s4, 0x429ad128
	s_mov_b32 s5, 0xbfebfeb5
	s_mov_b32 s18, 0xaaaaaaaa
	s_mov_b32 s10, 0x5476071b
	s_mov_b32 s26, 0xb247c609
	s_mov_b32 s19, 0xbff2aaaa
	s_mov_b32 s11, 0x3fe77f67
	s_mov_b32 s17, 0xbfe77f67
	s_mov_b32 s27, 0xbfd5d0dc
	s_mov_b32 s16, s10
	s_mov_b32 s25, 0x3fd5d0dc
	s_mov_b32 s24, s26
	s_mov_b32 s22, 0x37c3f68c
	s_mov_b32 s23, 0xbfdc38aa
	v_lshrrev_b32_e32 v85, 3, v80
	v_mul_u32_u24_e32 v85, 56, v85
	v_or_b32_e32 v85, v85, v81
	v_lshl_add_u32 v85, v85, 4, 0
	s_waitcnt lgkmcnt(0)
	; wave barrier
	s_waitcnt vmcnt(5) lgkmcnt(0)
	v_mul_f64 v[89:90], v[50:51], v[62:63]
	v_mul_f64 v[91:92], v[48:49], v[62:63]
	s_waitcnt vmcnt(4)
	v_mul_f64 v[93:94], v[46:47], v[66:67]
	v_mul_f64 v[95:96], v[44:45], v[66:67]
	s_waitcnt vmcnt(2)
	;; [unrolled: 3-line block ×3, first 2 shown]
	v_mul_f64 v[105:106], v[42:43], v[78:79]
	v_mul_f64 v[107:108], v[40:41], v[78:79]
	v_mul_f64 v[97:98], v[38:39], v[58:59]
	v_mul_f64 v[99:100], v[36:37], v[58:59]
	s_waitcnt vmcnt(0)
	v_mul_f64 v[109:110], v[34:35], v[74:75]
	v_mul_f64 v[111:112], v[32:33], v[74:75]
	v_fma_f64 v[48:49], v[48:49], v[60:61], v[89:90]
	v_fma_f64 v[50:51], v[50:51], v[60:61], -v[91:92]
	v_fma_f64 v[44:45], v[44:45], v[64:65], v[93:94]
	v_fma_f64 v[46:47], v[46:47], v[64:65], -v[95:96]
	v_fma_f64 v[52:53], v[52:53], v[68:69], v[101:102]
	v_fma_f64 v[54:55], v[54:55], v[68:69], -v[103:104]
	v_fma_f64 v[40:41], v[40:41], v[76:77], v[105:106]
	v_fma_f64 v[42:43], v[42:43], v[76:77], -v[107:108]
	v_fma_f64 v[36:37], v[36:37], v[56:57], v[97:98]
	v_fma_f64 v[38:39], v[38:39], v[56:57], -v[99:100]
	v_fma_f64 v[32:33], v[32:33], v[72:73], v[109:110]
	v_fma_f64 v[34:35], v[34:35], v[72:73], -v[111:112]
	v_add_f64 v[89:90], v[48:49], v[52:53]
	v_add_f64 v[91:92], v[50:51], v[54:55]
	v_add_f64 v[48:49], v[48:49], -v[52:53]
	v_add_f64 v[50:51], v[50:51], -v[54:55]
	v_add_f64 v[52:53], v[44:45], v[40:41]
	v_add_f64 v[54:55], v[46:47], v[42:43]
	v_add_f64 v[40:41], v[44:45], -v[40:41]
	v_add_f64 v[42:43], v[46:47], -v[42:43]
	;; [unrolled: 4-line block ×4, first 2 shown]
	v_add_f64 v[89:90], v[89:90], -v[44:45]
	v_add_f64 v[91:92], v[91:92], -v[46:47]
	;; [unrolled: 1-line block ×4, first 2 shown]
	v_add_f64 v[97:98], v[32:33], v[40:41]
	v_add_f64 v[99:100], v[34:35], v[42:43]
	v_add_f64 v[101:102], v[32:33], -v[40:41]
	v_add_f64 v[103:104], v[34:35], -v[42:43]
	v_add_f64 v[36:37], v[44:45], v[36:37]
	v_add_f64 v[38:39], v[46:47], v[38:39]
	v_add_f64 v[40:41], v[40:41], -v[48:49]
	v_add_f64 v[42:43], v[42:43], -v[50:51]
	;; [unrolled: 1-line block ×4, first 2 shown]
	v_add_f64 v[44:45], v[97:98], v[48:49]
	v_add_f64 v[46:47], v[99:100], v[50:51]
	v_mul_f64 v[48:49], v[89:90], s[14:15]
	v_mul_f64 v[50:51], v[91:92], s[14:15]
	;; [unrolled: 1-line block ×6, first 2 shown]
	v_add_f64 v[28:29], v[28:29], v[36:37]
	v_add_f64 v[30:31], v[30:31], v[38:39]
	v_mul_f64 v[101:102], v[40:41], s[4:5]
	v_mul_f64 v[103:104], v[42:43], s[4:5]
	v_fma_f64 v[52:53], v[52:53], s[6:7], v[48:49]
	v_fma_f64 v[54:55], v[54:55], s[6:7], v[50:51]
	v_fma_f64 v[89:90], v[93:94], s[10:11], -v[89:90]
	v_fma_f64 v[91:92], v[95:96], s[10:11], -v[91:92]
	;; [unrolled: 1-line block ×4, first 2 shown]
	v_fma_f64 v[93:94], v[32:33], s[26:27], v[97:98]
	v_fma_f64 v[95:96], v[34:35], s[26:27], v[99:100]
	;; [unrolled: 1-line block ×4, first 2 shown]
	v_fma_f64 v[32:33], v[32:33], s[24:25], -v[101:102]
	v_fma_f64 v[34:35], v[34:35], s[24:25], -v[103:104]
	;; [unrolled: 1-line block ×4, first 2 shown]
	v_fma_f64 v[93:94], v[44:45], s[22:23], v[93:94]
	v_fma_f64 v[95:96], v[46:47], s[22:23], v[95:96]
	v_add_f64 v[52:53], v[52:53], v[36:37]
	v_add_f64 v[54:55], v[54:55], v[38:39]
	v_fma_f64 v[101:102], v[44:45], s[22:23], v[32:33]
	v_fma_f64 v[103:104], v[46:47], s[22:23], v[34:35]
	v_add_f64 v[48:49], v[48:49], v[36:37]
	v_add_f64 v[50:51], v[50:51], v[38:39]
	;; [unrolled: 4-line block ×3, first 2 shown]
	v_add_f64 v[32:33], v[95:96], v[52:53]
	v_add_f64 v[34:35], v[54:55], -v[93:94]
	v_add_f64 v[36:37], v[103:104], v[48:49]
	v_add_f64 v[38:39], v[50:51], -v[101:102]
	v_add_f64 v[48:49], v[48:49], -v[103:104]
	v_add_f64 v[50:51], v[101:102], v[50:51]
	v_add_f64 v[40:41], v[44:45], -v[99:100]
	v_add_f64 v[42:43], v[97:98], v[46:47]
	v_add_f64 v[44:45], v[99:100], v[44:45]
	v_add_f64 v[46:47], v[46:47], -v[97:98]
	v_add_f64 v[52:53], v[52:53], -v[95:96]
	v_add_f64 v[54:55], v[93:94], v[54:55]
	ds_write_b128 v85, v[28:31]
	ds_write_b128 v85, v[32:35] offset:128
	ds_write_b128 v85, v[36:39] offset:256
	;; [unrolled: 1-line block ×6, first 2 shown]
	s_and_saveexec_b64 s[28:29], s[0:1]
	s_cbranch_execz .LBB0_19
; %bb.18:
	v_mul_f64 v[32:33], v[14:15], v[66:67]
	v_mul_f64 v[34:35], v[26:27], v[78:79]
	;; [unrolled: 1-line block ×8, first 2 shown]
	v_fma_f64 v[12:13], v[12:13], v[64:65], v[32:33]
	v_fma_f64 v[32:33], v[24:25], v[76:77], v[34:35]
	v_mul_f64 v[24:25], v[24:25], v[78:79]
	v_mul_f64 v[34:35], v[8:9], v[62:63]
	v_fma_f64 v[28:29], v[20:21], v[72:73], v[28:29]
	v_fma_f64 v[30:31], v[16:17], v[56:57], v[30:31]
	v_mul_f64 v[16:17], v[16:17], v[58:59]
	v_mul_f64 v[20:21], v[20:21], v[74:75]
	v_fma_f64 v[14:15], v[14:15], v[64:65], -v[36:37]
	v_fma_f64 v[6:7], v[6:7], v[68:69], -v[38:39]
	;; [unrolled: 1-line block ×4, first 2 shown]
	v_add_f64 v[34:35], v[12:13], -v[32:33]
	v_add_f64 v[26:27], v[28:29], -v[30:31]
	v_fma_f64 v[8:9], v[8:9], v[60:61], v[40:41]
	v_fma_f64 v[4:5], v[4:5], v[68:69], v[42:43]
	v_fma_f64 v[16:17], v[18:19], v[56:57], -v[16:17]
	v_fma_f64 v[18:19], v[22:23], v[72:73], -v[20:21]
	v_add_f64 v[20:21], v[14:15], v[24:25]
	v_add_f64 v[22:23], v[10:11], v[6:7]
	v_add_f64 v[12:13], v[12:13], v[32:33]
	v_add_f64 v[36:37], v[26:27], -v[34:35]
	v_add_f64 v[44:45], v[26:27], v[34:35]
	v_add_f64 v[38:39], v[8:9], -v[4:5]
	v_add_f64 v[4:5], v[8:9], v[4:5]
	v_add_f64 v[40:41], v[16:17], v[18:19]
	;; [unrolled: 1-line block ×4, first 2 shown]
	v_add_f64 v[16:17], v[18:19], -v[16:17]
	v_mul_f64 v[36:37], v[36:37], s[20:21]
	v_add_f64 v[14:15], v[14:15], -v[24:25]
	v_add_f64 v[26:27], v[38:39], -v[26:27]
	v_add_f64 v[8:9], v[44:45], v[38:39]
	v_add_f64 v[46:47], v[22:23], -v[40:41]
	v_add_f64 v[30:31], v[12:13], v[4:5]
	v_add_f64 v[42:43], v[40:41], v[42:43]
	v_add_f64 v[40:41], v[40:41], -v[20:21]
	v_add_f64 v[6:7], v[10:11], -v[6:7]
	;; [unrolled: 1-line block ×3, first 2 shown]
	v_fma_f64 v[32:33], v[26:27], s[26:27], v[36:37]
	v_add_f64 v[38:39], v[16:17], v[14:15]
	v_mul_f64 v[44:45], v[46:47], s[14:15]
	v_add_f64 v[30:31], v[28:29], v[30:31]
	v_add_f64 v[2:3], v[2:3], v[42:43]
	v_add_f64 v[46:47], v[16:17], -v[14:15]
	v_add_f64 v[14:15], v[14:15], -v[6:7]
	;; [unrolled: 1-line block ×3, first 2 shown]
	v_fma_f64 v[24:25], v[8:9], s[22:23], v[32:33]
	v_add_f64 v[16:17], v[6:7], -v[16:17]
	v_fma_f64 v[18:19], v[40:41], s[6:7], v[44:45]
	v_mul_f64 v[40:41], v[40:41], s[6:7]
	v_fma_f64 v[32:33], v[42:43], s[18:19], v[2:3]
	v_add_f64 v[42:43], v[4:5], -v[28:29]
	v_add_f64 v[28:29], v[28:29], -v[12:13]
	v_add_f64 v[0:1], v[0:1], v[30:31]
	v_add_f64 v[4:5], v[12:13], -v[4:5]
	v_mul_f64 v[12:13], v[14:15], s[4:5]
	v_add_f64 v[34:35], v[18:19], v[32:33]
	v_mul_f64 v[18:19], v[42:43], s[14:15]
	v_mul_f64 v[42:43], v[46:47], s[20:21]
	;; [unrolled: 1-line block ×4, first 2 shown]
	v_fma_f64 v[10:11], v[10:11], s[4:5], -v[36:37]
	v_fma_f64 v[12:13], v[16:17], s[24:25], -v[12:13]
	v_fma_f64 v[22:23], v[28:29], s[6:7], v[18:19]
	v_fma_f64 v[28:29], v[30:31], s[18:19], v[0:1]
	v_add_f64 v[30:31], v[38:39], v[6:7]
	v_fma_f64 v[26:27], v[26:27], s[24:25], -v[46:47]
	v_fma_f64 v[38:39], v[20:21], s[16:17], -v[44:45]
	;; [unrolled: 1-line block ×3, first 2 shown]
	v_fma_f64 v[6:7], v[16:17], s[26:27], v[42:43]
	v_fma_f64 v[18:19], v[4:5], s[16:17], -v[18:19]
	v_add_f64 v[36:37], v[22:23], v[28:29]
	v_fma_f64 v[22:23], v[8:9], s[22:23], v[26:27]
	v_add_f64 v[16:17], v[38:39], v[32:33]
	v_add_f64 v[20:21], v[20:21], v[32:33]
	v_fma_f64 v[26:27], v[14:15], s[4:5], -v[42:43]
	v_fma_f64 v[32:33], v[4:5], s[10:11], -v[48:49]
	v_fma_f64 v[40:41], v[30:31], s[22:23], v[6:7]
	v_fma_f64 v[8:9], v[8:9], s[22:23], v[10:11]
	v_add_f64 v[38:39], v[18:19], v[28:29]
	v_fma_f64 v[42:43], v[30:31], s[22:23], v[12:13]
	v_add_f64 v[6:7], v[24:25], v[34:35]
	v_add_f64 v[10:11], v[22:23], v[16:17]
	v_fma_f64 v[12:13], v[30:31], s[22:23], v[26:27]
	v_add_f64 v[28:29], v[32:33], v[28:29]
	v_add_f64 v[26:27], v[34:35], -v[24:25]
	v_add_f64 v[14:15], v[20:21], -v[8:9]
	v_add_f64 v[18:19], v[8:9], v[20:21]
	v_add_f64 v[24:25], v[40:41], v[36:37]
	v_lshrrev_b32_e32 v8, 3, v84
	v_add_f64 v[22:23], v[16:17], -v[22:23]
	v_add_f64 v[20:21], v[42:43], v[38:39]
	v_mul_lo_u32 v30, v8, 56
	v_add_f64 v[16:17], v[28:29], -v[12:13]
	v_add_f64 v[12:13], v[12:13], v[28:29]
	v_add_f64 v[8:9], v[38:39], -v[42:43]
	v_add_f64 v[4:5], v[36:37], -v[40:41]
	v_or_b32_e32 v28, v30, v81
	v_lshl_add_u32 v28, v28, 4, 0
	ds_write_b128 v28, v[0:3]
	ds_write_b128 v28, v[24:27] offset:128
	ds_write_b128 v28, v[20:23] offset:256
	;; [unrolled: 1-line block ×6, first 2 shown]
.LBB0_19:
	s_or_b64 exec, exec, s[28:29]
	v_lshlrev_b32_e32 v0, 2, v80
	v_mov_b32_e32 v1, 0
	v_lshlrev_b64 v[2:3], 4, v[0:1]
	v_mov_b32_e32 v0, s9
	v_add_co_u32_e64 v18, s[0:1], s8, v2
	v_addc_co_u32_e64 v19, s[0:1], v0, v3, s[0:1]
	s_waitcnt lgkmcnt(0)
	; wave barrier
	s_waitcnt lgkmcnt(0)
	global_load_dwordx4 v[2:5], v[18:19], off offset:768
	global_load_dwordx4 v[6:9], v[18:19], off offset:784
	;; [unrolled: 1-line block ×4, first 2 shown]
	ds_read_b128 v[18:21], v86
	ds_read_b128 v[22:25], v88
	ds_read_b128 v[26:29], v86 offset:1792
	ds_read_b128 v[30:33], v86 offset:2688
	;; [unrolled: 1-line block ×8, first 2 shown]
	s_mov_b32 s6, 0x134454ff
	s_mov_b32 s7, 0xbfee6f0e
	s_mov_b32 s15, 0x3fee6f0e
	s_mov_b32 s14, s6
	s_mov_b32 s0, 0x4755a5e
	s_mov_b32 s1, 0xbfe2cf23
	s_mov_b32 s11, 0x3fe2cf23
	s_mov_b32 s10, s0
	s_mov_b32 s4, 0x372fe950
	s_mov_b32 s5, 0x3fd3c6ef
	v_mov_b32_e32 v81, v1
	s_waitcnt lgkmcnt(0)
	; wave barrier
	s_waitcnt lgkmcnt(0)
	v_mov_b32_e32 v85, v1
	s_waitcnt vmcnt(3)
	v_mul_f64 v[58:59], v[28:29], v[4:5]
	v_mul_f64 v[60:61], v[26:27], v[4:5]
	s_waitcnt vmcnt(2)
	v_mul_f64 v[62:63], v[36:37], v[8:9]
	v_mul_f64 v[64:65], v[34:35], v[8:9]
	;; [unrolled: 3-line block ×4, first 2 shown]
	v_mul_f64 v[74:75], v[32:33], v[4:5]
	v_mul_f64 v[4:5], v[30:31], v[4:5]
	;; [unrolled: 1-line block ×7, first 2 shown]
	v_fma_f64 v[26:27], v[26:27], v[2:3], v[58:59]
	v_fma_f64 v[28:29], v[28:29], v[2:3], -v[60:61]
	v_fma_f64 v[34:35], v[34:35], v[6:7], v[62:63]
	v_fma_f64 v[36:37], v[36:37], v[6:7], -v[64:65]
	;; [unrolled: 2-line block ×4, first 2 shown]
	v_mul_f64 v[8:9], v[38:39], v[8:9]
	v_fma_f64 v[30:31], v[30:31], v[2:3], v[74:75]
	v_fma_f64 v[32:33], v[32:33], v[2:3], -v[4:5]
	v_fma_f64 v[38:39], v[38:39], v[6:7], v[76:77]
	v_fma_f64 v[46:47], v[46:47], v[10:11], v[78:79]
	v_fma_f64 v[48:49], v[48:49], v[10:11], -v[12:13]
	v_fma_f64 v[54:55], v[54:55], v[14:15], v[89:90]
	v_fma_f64 v[56:57], v[56:57], v[14:15], -v[16:17]
	v_add_f64 v[2:3], v[18:19], v[26:27]
	v_add_f64 v[4:5], v[34:35], v[42:43]
	v_add_f64 v[10:11], v[26:27], -v[34:35]
	v_add_f64 v[12:13], v[50:51], -v[42:43]
	v_add_f64 v[14:15], v[26:27], v[50:51]
	v_add_f64 v[60:61], v[20:21], v[28:29]
	;; [unrolled: 1-line block ×4, first 2 shown]
	v_fma_f64 v[40:41], v[40:41], v[6:7], -v[8:9]
	v_add_f64 v[6:7], v[28:29], -v[52:53]
	v_add_f64 v[8:9], v[36:37], -v[44:45]
	;; [unrolled: 1-line block ×7, first 2 shown]
	v_add_f64 v[76:77], v[38:39], v[46:47]
	v_add_f64 v[95:96], v[30:31], v[54:55]
	;; [unrolled: 1-line block ×3, first 2 shown]
	v_fma_f64 v[4:5], v[4:5], -0.5, v[18:19]
	v_add_f64 v[10:11], v[10:11], v[12:13]
	v_fma_f64 v[12:13], v[14:15], -0.5, v[18:19]
	v_add_f64 v[14:15], v[60:61], v[36:37]
	v_fma_f64 v[18:19], v[62:63], -0.5, v[20:21]
	v_fma_f64 v[20:21], v[70:71], -0.5, v[20:21]
	v_add_f64 v[26:27], v[26:27], -v[50:51]
	v_add_f64 v[28:29], v[36:37], -v[28:29]
	;; [unrolled: 1-line block ×3, first 2 shown]
	v_add_f64 v[74:75], v[22:23], v[30:31]
	v_add_f64 v[16:17], v[16:17], v[58:59]
	;; [unrolled: 1-line block ×3, first 2 shown]
	v_fma_f64 v[58:59], v[76:77], -0.5, v[22:23]
	v_fma_f64 v[62:63], v[95:96], -0.5, v[22:23]
	v_add_f64 v[2:3], v[2:3], v[42:43]
	v_fma_f64 v[22:23], v[6:7], s[6:7], v[4:5]
	v_fma_f64 v[4:5], v[6:7], s[14:15], v[4:5]
	v_fma_f64 v[42:43], v[8:9], s[14:15], v[12:13]
	v_fma_f64 v[12:13], v[8:9], s[6:7], v[12:13]
	v_add_f64 v[14:15], v[14:15], v[44:45]
	v_fma_f64 v[66:67], v[64:65], s[6:7], v[20:21]
	v_fma_f64 v[20:21], v[64:65], s[14:15], v[20:21]
	;; [unrolled: 1-line block ×3, first 2 shown]
	v_add_f64 v[28:29], v[28:29], v[72:73]
	v_fma_f64 v[18:19], v[26:27], s[6:7], v[18:19]
	v_fma_f64 v[22:23], v[8:9], s[0:1], v[22:23]
	v_fma_f64 v[8:9], v[8:9], s[10:11], v[4:5]
	v_fma_f64 v[42:43], v[6:7], s[0:1], v[42:43]
	v_fma_f64 v[12:13], v[6:7], s[10:11], v[12:13]
	v_add_f64 v[4:5], v[14:15], v[52:53]
	v_fma_f64 v[52:53], v[26:27], s[10:11], v[66:67]
	v_fma_f64 v[20:21], v[26:27], s[0:1], v[20:21]
	;; [unrolled: 1-line block ×3, first 2 shown]
	v_add_f64 v[36:37], v[74:75], v[38:39]
	v_add_f64 v[2:3], v[2:3], v[50:51]
	v_fma_f64 v[50:51], v[64:65], s[0:1], v[18:19]
	v_fma_f64 v[14:15], v[16:17], s[4:5], v[42:43]
	;; [unrolled: 1-line block ×5, first 2 shown]
	v_add_f64 v[28:29], v[40:41], v[48:49]
	v_fma_f64 v[6:7], v[10:11], s[4:5], v[22:23]
	v_fma_f64 v[10:11], v[10:11], s[4:5], v[8:9]
	;; [unrolled: 1-line block ×3, first 2 shown]
	v_add_f64 v[44:45], v[32:33], v[56:57]
	v_add_f64 v[52:53], v[24:25], v[32:33]
	v_add_f64 v[78:79], v[32:33], -v[56:57]
	v_add_f64 v[91:92], v[30:31], -v[38:39]
	v_add_f64 v[36:37], v[36:37], v[46:47]
	v_fma_f64 v[12:13], v[34:35], s[4:5], v[50:51]
	v_add_f64 v[42:43], v[38:39], -v[30:31]
	v_add_f64 v[50:51], v[46:47], -v[54:55]
	v_fma_f64 v[28:29], v[28:29], -0.5, v[24:25]
	v_add_f64 v[30:31], v[30:31], -v[54:55]
	v_add_f64 v[89:90], v[40:41], -v[48:49]
	;; [unrolled: 1-line block ×3, first 2 shown]
	v_fma_f64 v[24:25], v[44:45], -0.5, v[24:25]
	v_add_f64 v[93:94], v[54:55], -v[46:47]
	v_add_f64 v[46:47], v[52:53], v[40:41]
	v_fma_f64 v[68:69], v[78:79], s[6:7], v[58:59]
	v_add_f64 v[22:23], v[36:37], v[54:55]
	v_add_f64 v[42:43], v[42:43], v[50:51]
	v_fma_f64 v[50:51], v[30:31], s[14:15], v[28:29]
	v_add_f64 v[52:53], v[32:33], -v[40:41]
	v_add_f64 v[54:55], v[56:57], -v[48:49]
	v_fma_f64 v[34:35], v[78:79], s[14:15], v[58:59]
	v_fma_f64 v[36:37], v[89:90], s[14:15], v[62:63]
	;; [unrolled: 1-line block ×3, first 2 shown]
	v_add_f64 v[32:33], v[40:41], -v[32:33]
	v_add_f64 v[40:41], v[48:49], -v[56:57]
	v_fma_f64 v[44:45], v[89:90], s[6:7], v[62:63]
	v_fma_f64 v[28:29], v[30:31], s[6:7], v[28:29]
	;; [unrolled: 1-line block ×3, first 2 shown]
	v_add_f64 v[46:47], v[46:47], v[48:49]
	v_add_f64 v[60:61], v[91:92], v[93:94]
	v_fma_f64 v[26:27], v[89:90], s[0:1], v[68:69]
	v_fma_f64 v[48:49], v[38:39], s[10:11], v[50:51]
	v_add_f64 v[50:51], v[52:53], v[54:55]
	v_fma_f64 v[34:35], v[89:90], s[10:11], v[34:35]
	v_fma_f64 v[36:37], v[78:79], s[0:1], v[36:37]
	v_fma_f64 v[54:55], v[30:31], s[10:11], v[58:59]
	v_add_f64 v[40:41], v[32:33], v[40:41]
	v_fma_f64 v[44:45], v[78:79], s[10:11], v[44:45]
	;; [unrolled: 4-line block ×3, first 2 shown]
	v_fma_f64 v[28:29], v[50:51], s[4:5], v[48:49]
	v_fma_f64 v[30:31], v[60:61], s[4:5], v[34:35]
	;; [unrolled: 1-line block ×7, first 2 shown]
	ds_write_b128 v86, v[2:5]
	ds_write_b128 v86, v[6:9] offset:896
	ds_write_b128 v86, v[14:17] offset:1792
	;; [unrolled: 1-line block ×9, first 2 shown]
	v_lshlrev_b64 v[2:3], 4, v[80:81]
	s_movk_i32 s4, 0x1000
	v_add_co_u32_e64 v2, s[0:1], s8, v2
	v_addc_co_u32_e64 v3, s[0:1], v0, v3, s[0:1]
	v_add_co_u32_e64 v22, s[0:1], s4, v2
	v_lshlrev_b64 v[6:7], 4, v[84:85]
	v_addc_co_u32_e64 v23, s[0:1], 0, v3, s[0:1]
	v_add_co_u32_e64 v1, s[0:1], s8, v6
	s_waitcnt lgkmcnt(0)
	; wave barrier
	s_waitcnt lgkmcnt(0)
	global_load_dwordx4 v[2:5], v[22:23], off offset:256
	v_addc_co_u32_e64 v6, s[0:1], v0, v7, s[0:1]
	v_add_co_u32_e64 v0, s[0:1], s4, v1
	v_addc_co_u32_e64 v1, s[0:1], 0, v6, s[0:1]
	global_load_dwordx4 v[6:9], v[0:1], off offset:256
	global_load_dwordx4 v[10:13], v[22:23], off offset:2048
	;; [unrolled: 1-line block ×4, first 2 shown]
	ds_read_b128 v[22:25], v86 offset:4480
	ds_read_b128 v[26:29], v86
	ds_read_b128 v[30:33], v88
	ds_read_b128 v[34:37], v86 offset:5376
	ds_read_b128 v[38:41], v86 offset:6272
	;; [unrolled: 1-line block ×7, first 2 shown]
	s_waitcnt lgkmcnt(0)
	; wave barrier
	s_waitcnt vmcnt(4) lgkmcnt(0)
	v_mul_f64 v[0:1], v[24:25], v[4:5]
	v_mul_f64 v[4:5], v[22:23], v[4:5]
	s_waitcnt vmcnt(3)
	v_mul_f64 v[62:63], v[36:37], v[8:9]
	v_mul_f64 v[8:9], v[34:35], v[8:9]
	v_fma_f64 v[0:1], v[22:23], v[2:3], v[0:1]
	v_fma_f64 v[2:3], v[24:25], v[2:3], -v[4:5]
	s_waitcnt vmcnt(2)
	v_mul_f64 v[4:5], v[40:41], v[12:13]
	v_fma_f64 v[22:23], v[34:35], v[6:7], v[62:63]
	v_fma_f64 v[24:25], v[36:37], v[6:7], -v[8:9]
	v_mul_f64 v[6:7], v[38:39], v[12:13]
	s_waitcnt vmcnt(1)
	v_mul_f64 v[8:9], v[56:57], v[16:17]
	v_mul_f64 v[12:13], v[54:55], v[16:17]
	s_waitcnt vmcnt(0)
	v_mul_f64 v[16:17], v[60:61], v[20:21]
	v_mul_f64 v[20:21], v[58:59], v[20:21]
	v_fma_f64 v[34:35], v[38:39], v[10:11], v[4:5]
	v_add_f64 v[0:1], v[26:27], -v[0:1]
	v_add_f64 v[2:3], v[28:29], -v[2:3]
	v_fma_f64 v[36:37], v[40:41], v[10:11], -v[6:7]
	v_fma_f64 v[38:39], v[54:55], v[14:15], v[8:9]
	v_fma_f64 v[40:41], v[56:57], v[14:15], -v[12:13]
	v_fma_f64 v[54:55], v[58:59], v[18:19], v[16:17]
	v_fma_f64 v[56:57], v[60:61], v[18:19], -v[20:21]
	v_add_f64 v[8:9], v[30:31], -v[22:23]
	v_add_f64 v[10:11], v[32:33], -v[24:25]
	;; [unrolled: 1-line block ×6, first 2 shown]
	v_fma_f64 v[4:5], v[26:27], 2.0, -v[0:1]
	v_fma_f64 v[6:7], v[28:29], 2.0, -v[2:3]
	v_add_f64 v[20:21], v[42:43], -v[54:55]
	v_add_f64 v[22:23], v[44:45], -v[56:57]
	v_fma_f64 v[24:25], v[30:31], 2.0, -v[8:9]
	v_fma_f64 v[26:27], v[32:33], 2.0, -v[10:11]
	;; [unrolled: 1-line block ×8, first 2 shown]
	ds_write_b128 v86, v[4:7]
	ds_write_b128 v86, v[0:3] offset:4480
	ds_write_b128 v88, v[24:27]
	ds_write_b128 v88, v[8:11] offset:4480
	ds_write_b128 v86, v[28:31] offset:1792
	;; [unrolled: 1-line block ×7, first 2 shown]
	s_waitcnt lgkmcnt(0)
	; wave barrier
	s_waitcnt lgkmcnt(0)
	s_and_saveexec_b64 s[0:1], vcc
	s_cbranch_execz .LBB0_21
; %bb.20:
	v_mad_u64_u32 v[4:5], s[0:1], s2, v80, 0
	v_mad_u64_u32 v[8:9], s[0:1], s2, v87, 0
	;; [unrolled: 1-line block ×3, first 2 shown]
	ds_read_b128 v[0:3], v86
	v_mov_b32_e32 v6, s13
	v_add_co_u32_e32 v13, vcc, s12, v82
	v_addc_co_u32_e32 v14, vcc, v6, v83, vcc
	v_lshlrev_b64 v[4:5], 4, v[4:5]
	v_mov_b32_e32 v6, v9
	v_mad_u64_u32 v[9:10], s[0:1], s3, v87, v[6:7]
	v_add_co_u32_e32 v10, vcc, v13, v4
	v_addc_co_u32_e32 v11, vcc, v14, v5, vcc
	ds_read_b128 v[4:7], v86 offset:896
	s_waitcnt lgkmcnt(1)
	global_store_dwordx4 v[10:11], v[0:3], off
	s_nop 0
	v_add_u32_e32 v2, 0x70, v80
	v_lshlrev_b64 v[0:1], 4, v[8:9]
	v_mad_u64_u32 v[8:9], s[0:1], s2, v2, 0
	v_add_co_u32_e32 v0, vcc, v13, v0
	v_addc_co_u32_e32 v1, vcc, v14, v1, vcc
	s_waitcnt lgkmcnt(0)
	global_store_dwordx4 v[0:1], v[4:7], off
	v_mov_b32_e32 v0, v9
	v_add_u32_e32 v7, 0xa8, v80
	v_mad_u64_u32 v[0:1], s[0:1], s3, v2, v[0:1]
	v_mad_u64_u32 v[10:11], s[0:1], s2, v7, 0
	v_mov_b32_e32 v9, v0
	ds_read_b128 v[0:3], v86 offset:1792
	v_mov_b32_e32 v6, v11
	v_lshlrev_b64 v[4:5], 4, v[8:9]
	v_mad_u64_u32 v[8:9], s[0:1], s3, v7, v[6:7]
	v_add_co_u32_e32 v11, vcc, v13, v4
	v_addc_co_u32_e32 v12, vcc, v14, v5, vcc
	ds_read_b128 v[4:7], v86 offset:2688
	s_waitcnt lgkmcnt(1)
	global_store_dwordx4 v[11:12], v[0:3], off
	v_mov_b32_e32 v11, v8
	v_add_u32_e32 v2, 0xe0, v80
	v_lshlrev_b64 v[0:1], 4, v[10:11]
	v_mad_u64_u32 v[8:9], s[0:1], s2, v2, 0
	v_add_co_u32_e32 v0, vcc, v13, v0
	v_addc_co_u32_e32 v1, vcc, v14, v1, vcc
	s_waitcnt lgkmcnt(0)
	global_store_dwordx4 v[0:1], v[4:7], off
	v_mov_b32_e32 v0, v9
	v_add_u32_e32 v7, 0x118, v80
	v_mad_u64_u32 v[0:1], s[0:1], s3, v2, v[0:1]
	v_mad_u64_u32 v[10:11], s[0:1], s2, v7, 0
	v_mov_b32_e32 v9, v0
	ds_read_b128 v[0:3], v86 offset:3584
	v_mov_b32_e32 v6, v11
	v_lshlrev_b64 v[4:5], 4, v[8:9]
	v_mad_u64_u32 v[8:9], s[0:1], s3, v7, v[6:7]
	v_add_co_u32_e32 v11, vcc, v13, v4
	v_addc_co_u32_e32 v12, vcc, v14, v5, vcc
	ds_read_b128 v[4:7], v86 offset:4480
	s_waitcnt lgkmcnt(1)
	global_store_dwordx4 v[11:12], v[0:3], off
	v_mov_b32_e32 v11, v8
	;; [unrolled: 22-line block ×3, first 2 shown]
	v_or_b32_e32 v2, 0x1c0, v80
	v_lshlrev_b64 v[0:1], 4, v[10:11]
	v_mad_u64_u32 v[8:9], s[0:1], s2, v2, 0
	v_add_co_u32_e32 v0, vcc, v13, v0
	v_addc_co_u32_e32 v1, vcc, v14, v1, vcc
	s_waitcnt lgkmcnt(0)
	global_store_dwordx4 v[0:1], v[4:7], off
	v_mov_b32_e32 v0, v9
	v_add_u32_e32 v7, 0x1f8, v80
	v_mad_u64_u32 v[0:1], s[0:1], s3, v2, v[0:1]
	v_mad_u64_u32 v[10:11], s[0:1], s2, v7, 0
	v_mov_b32_e32 v9, v0
	ds_read_b128 v[0:3], v86 offset:7168
	v_mov_b32_e32 v6, v11
	v_lshlrev_b64 v[4:5], 4, v[8:9]
	v_mad_u64_u32 v[8:9], s[0:1], s3, v7, v[6:7]
	v_add_co_u32_e32 v11, vcc, v13, v4
	v_addc_co_u32_e32 v12, vcc, v14, v5, vcc
	ds_read_b128 v[4:7], v86 offset:8064
	s_waitcnt lgkmcnt(1)
	global_store_dwordx4 v[11:12], v[0:3], off
	v_mov_b32_e32 v11, v8
	v_lshlrev_b64 v[0:1], 4, v[10:11]
	v_add_co_u32_e32 v0, vcc, v13, v0
	v_addc_co_u32_e32 v1, vcc, v14, v1, vcc
	s_waitcnt lgkmcnt(0)
	global_store_dwordx4 v[0:1], v[4:7], off
.LBB0_21:
	s_endpgm
	.section	.rodata,"a",@progbits
	.p2align	6, 0x0
	.amdhsa_kernel fft_rtc_back_len560_factors_8_7_5_2_wgs_56_tpt_56_dp_ip_CI_sbrr_dirReg
		.amdhsa_group_segment_fixed_size 0
		.amdhsa_private_segment_fixed_size 0
		.amdhsa_kernarg_size 88
		.amdhsa_user_sgpr_count 6
		.amdhsa_user_sgpr_private_segment_buffer 1
		.amdhsa_user_sgpr_dispatch_ptr 0
		.amdhsa_user_sgpr_queue_ptr 0
		.amdhsa_user_sgpr_kernarg_segment_ptr 1
		.amdhsa_user_sgpr_dispatch_id 0
		.amdhsa_user_sgpr_flat_scratch_init 0
		.amdhsa_user_sgpr_private_segment_size 0
		.amdhsa_uses_dynamic_stack 0
		.amdhsa_system_sgpr_private_segment_wavefront_offset 0
		.amdhsa_system_sgpr_workgroup_id_x 1
		.amdhsa_system_sgpr_workgroup_id_y 0
		.amdhsa_system_sgpr_workgroup_id_z 0
		.amdhsa_system_sgpr_workgroup_info 0
		.amdhsa_system_vgpr_workitem_id 0
		.amdhsa_next_free_vgpr 113
		.amdhsa_next_free_sgpr 30
		.amdhsa_reserve_vcc 1
		.amdhsa_reserve_flat_scratch 0
		.amdhsa_float_round_mode_32 0
		.amdhsa_float_round_mode_16_64 0
		.amdhsa_float_denorm_mode_32 3
		.amdhsa_float_denorm_mode_16_64 3
		.amdhsa_dx10_clamp 1
		.amdhsa_ieee_mode 1
		.amdhsa_fp16_overflow 0
		.amdhsa_exception_fp_ieee_invalid_op 0
		.amdhsa_exception_fp_denorm_src 0
		.amdhsa_exception_fp_ieee_div_zero 0
		.amdhsa_exception_fp_ieee_overflow 0
		.amdhsa_exception_fp_ieee_underflow 0
		.amdhsa_exception_fp_ieee_inexact 0
		.amdhsa_exception_int_div_zero 0
	.end_amdhsa_kernel
	.text
.Lfunc_end0:
	.size	fft_rtc_back_len560_factors_8_7_5_2_wgs_56_tpt_56_dp_ip_CI_sbrr_dirReg, .Lfunc_end0-fft_rtc_back_len560_factors_8_7_5_2_wgs_56_tpt_56_dp_ip_CI_sbrr_dirReg
                                        ; -- End function
	.section	.AMDGPU.csdata,"",@progbits
; Kernel info:
; codeLenInByte = 8132
; NumSgprs: 34
; NumVgprs: 113
; ScratchSize: 0
; MemoryBound: 0
; FloatMode: 240
; IeeeMode: 1
; LDSByteSize: 0 bytes/workgroup (compile time only)
; SGPRBlocks: 4
; VGPRBlocks: 28
; NumSGPRsForWavesPerEU: 34
; NumVGPRsForWavesPerEU: 113
; Occupancy: 2
; WaveLimiterHint : 1
; COMPUTE_PGM_RSRC2:SCRATCH_EN: 0
; COMPUTE_PGM_RSRC2:USER_SGPR: 6
; COMPUTE_PGM_RSRC2:TRAP_HANDLER: 0
; COMPUTE_PGM_RSRC2:TGID_X_EN: 1
; COMPUTE_PGM_RSRC2:TGID_Y_EN: 0
; COMPUTE_PGM_RSRC2:TGID_Z_EN: 0
; COMPUTE_PGM_RSRC2:TIDIG_COMP_CNT: 0
	.type	__hip_cuid_1798faafb4db65e6,@object ; @__hip_cuid_1798faafb4db65e6
	.section	.bss,"aw",@nobits
	.globl	__hip_cuid_1798faafb4db65e6
__hip_cuid_1798faafb4db65e6:
	.byte	0                               ; 0x0
	.size	__hip_cuid_1798faafb4db65e6, 1

	.ident	"AMD clang version 19.0.0git (https://github.com/RadeonOpenCompute/llvm-project roc-6.4.0 25133 c7fe45cf4b819c5991fe208aaa96edf142730f1d)"
	.section	".note.GNU-stack","",@progbits
	.addrsig
	.addrsig_sym __hip_cuid_1798faafb4db65e6
	.amdgpu_metadata
---
amdhsa.kernels:
  - .args:
      - .actual_access:  read_only
        .address_space:  global
        .offset:         0
        .size:           8
        .value_kind:     global_buffer
      - .offset:         8
        .size:           8
        .value_kind:     by_value
      - .actual_access:  read_only
        .address_space:  global
        .offset:         16
        .size:           8
        .value_kind:     global_buffer
      - .actual_access:  read_only
        .address_space:  global
        .offset:         24
        .size:           8
        .value_kind:     global_buffer
      - .offset:         32
        .size:           8
        .value_kind:     by_value
      - .actual_access:  read_only
        .address_space:  global
        .offset:         40
        .size:           8
        .value_kind:     global_buffer
      - .actual_access:  read_only
        .address_space:  global
        .offset:         48
        .size:           8
        .value_kind:     global_buffer
      - .offset:         56
        .size:           4
        .value_kind:     by_value
      - .actual_access:  read_only
        .address_space:  global
        .offset:         64
        .size:           8
        .value_kind:     global_buffer
      - .actual_access:  read_only
        .address_space:  global
        .offset:         72
        .size:           8
        .value_kind:     global_buffer
      - .address_space:  global
        .offset:         80
        .size:           8
        .value_kind:     global_buffer
    .group_segment_fixed_size: 0
    .kernarg_segment_align: 8
    .kernarg_segment_size: 88
    .language:       OpenCL C
    .language_version:
      - 2
      - 0
    .max_flat_workgroup_size: 56
    .name:           fft_rtc_back_len560_factors_8_7_5_2_wgs_56_tpt_56_dp_ip_CI_sbrr_dirReg
    .private_segment_fixed_size: 0
    .sgpr_count:     34
    .sgpr_spill_count: 0
    .symbol:         fft_rtc_back_len560_factors_8_7_5_2_wgs_56_tpt_56_dp_ip_CI_sbrr_dirReg.kd
    .uniform_work_group_size: 1
    .uses_dynamic_stack: false
    .vgpr_count:     113
    .vgpr_spill_count: 0
    .wavefront_size: 64
amdhsa.target:   amdgcn-amd-amdhsa--gfx906
amdhsa.version:
  - 1
  - 2
...

	.end_amdgpu_metadata
